;; amdgpu-corpus repo=ROCm/rocFFT kind=compiled arch=gfx1030 opt=O3
	.text
	.amdgcn_target "amdgcn-amd-amdhsa--gfx1030"
	.amdhsa_code_object_version 6
	.protected	fft_rtc_fwd_len1815_factors_11_3_5_11_wgs_165_tpt_165_half_op_CI_CI_unitstride_sbrr_dirReg ; -- Begin function fft_rtc_fwd_len1815_factors_11_3_5_11_wgs_165_tpt_165_half_op_CI_CI_unitstride_sbrr_dirReg
	.globl	fft_rtc_fwd_len1815_factors_11_3_5_11_wgs_165_tpt_165_half_op_CI_CI_unitstride_sbrr_dirReg
	.p2align	8
	.type	fft_rtc_fwd_len1815_factors_11_3_5_11_wgs_165_tpt_165_half_op_CI_CI_unitstride_sbrr_dirReg,@function
fft_rtc_fwd_len1815_factors_11_3_5_11_wgs_165_tpt_165_half_op_CI_CI_unitstride_sbrr_dirReg: ; @fft_rtc_fwd_len1815_factors_11_3_5_11_wgs_165_tpt_165_half_op_CI_CI_unitstride_sbrr_dirReg
; %bb.0:
	s_clause 0x2
	s_load_dwordx4 s[12:15], s[4:5], 0x0
	s_load_dwordx4 s[8:11], s[4:5], 0x58
	;; [unrolled: 1-line block ×3, first 2 shown]
	v_mul_u32_u24_e32 v1, 0x18e, v0
	v_mov_b32_e32 v3, 0
	v_add_nc_u32_sdwa v5, s6, v1 dst_sel:DWORD dst_unused:UNUSED_PAD src0_sel:DWORD src1_sel:WORD_1
	v_mov_b32_e32 v1, 0
	v_mov_b32_e32 v6, v3
	v_mov_b32_e32 v2, 0
	s_waitcnt lgkmcnt(0)
	v_cmp_lt_u64_e64 s0, s[14:15], 2
	s_and_b32 vcc_lo, exec_lo, s0
	s_cbranch_vccnz .LBB0_8
; %bb.1:
	s_load_dwordx2 s[0:1], s[4:5], 0x10
	v_mov_b32_e32 v1, 0
	v_mov_b32_e32 v2, 0
	s_add_u32 s2, s18, 8
	s_addc_u32 s3, s19, 0
	s_add_u32 s6, s16, 8
	s_addc_u32 s7, s17, 0
	v_mov_b32_e32 v9, v2
	v_mov_b32_e32 v8, v1
	s_mov_b64 s[22:23], 1
	s_waitcnt lgkmcnt(0)
	s_add_u32 s20, s0, 8
	s_addc_u32 s21, s1, 0
.LBB0_2:                                ; =>This Inner Loop Header: Depth=1
	s_load_dwordx2 s[24:25], s[20:21], 0x0
                                        ; implicit-def: $vgpr12_vgpr13
	s_mov_b32 s0, exec_lo
	s_waitcnt lgkmcnt(0)
	v_or_b32_e32 v4, s25, v6
	v_cmpx_ne_u64_e32 0, v[3:4]
	s_xor_b32 s1, exec_lo, s0
	s_cbranch_execz .LBB0_4
; %bb.3:                                ;   in Loop: Header=BB0_2 Depth=1
	v_cvt_f32_u32_e32 v4, s24
	v_cvt_f32_u32_e32 v7, s25
	s_sub_u32 s0, 0, s24
	s_subb_u32 s26, 0, s25
	v_fmac_f32_e32 v4, 0x4f800000, v7
	v_rcp_f32_e32 v4, v4
	v_mul_f32_e32 v4, 0x5f7ffffc, v4
	v_mul_f32_e32 v7, 0x2f800000, v4
	v_trunc_f32_e32 v7, v7
	v_fmac_f32_e32 v4, 0xcf800000, v7
	v_cvt_u32_f32_e32 v7, v7
	v_cvt_u32_f32_e32 v4, v4
	v_mul_lo_u32 v10, s0, v7
	v_mul_hi_u32 v11, s0, v4
	v_mul_lo_u32 v12, s26, v4
	v_add_nc_u32_e32 v10, v11, v10
	v_mul_lo_u32 v11, s0, v4
	v_add_nc_u32_e32 v10, v10, v12
	v_mul_hi_u32 v12, v4, v11
	v_mul_lo_u32 v13, v4, v10
	v_mul_hi_u32 v14, v4, v10
	v_mul_hi_u32 v15, v7, v11
	v_mul_lo_u32 v11, v7, v11
	v_mul_hi_u32 v16, v7, v10
	v_mul_lo_u32 v10, v7, v10
	v_add_co_u32 v12, vcc_lo, v12, v13
	v_add_co_ci_u32_e32 v13, vcc_lo, 0, v14, vcc_lo
	v_add_co_u32 v11, vcc_lo, v12, v11
	v_add_co_ci_u32_e32 v11, vcc_lo, v13, v15, vcc_lo
	v_add_co_ci_u32_e32 v12, vcc_lo, 0, v16, vcc_lo
	v_add_co_u32 v10, vcc_lo, v11, v10
	v_add_co_ci_u32_e32 v11, vcc_lo, 0, v12, vcc_lo
	v_add_co_u32 v4, vcc_lo, v4, v10
	v_add_co_ci_u32_e32 v7, vcc_lo, v7, v11, vcc_lo
	v_mul_hi_u32 v10, s0, v4
	v_mul_lo_u32 v12, s26, v4
	v_mul_lo_u32 v11, s0, v7
	v_add_nc_u32_e32 v10, v10, v11
	v_mul_lo_u32 v11, s0, v4
	v_add_nc_u32_e32 v10, v10, v12
	v_mul_hi_u32 v12, v4, v11
	v_mul_lo_u32 v13, v4, v10
	v_mul_hi_u32 v14, v4, v10
	v_mul_hi_u32 v15, v7, v11
	v_mul_lo_u32 v11, v7, v11
	v_mul_hi_u32 v16, v7, v10
	v_mul_lo_u32 v10, v7, v10
	v_add_co_u32 v12, vcc_lo, v12, v13
	v_add_co_ci_u32_e32 v13, vcc_lo, 0, v14, vcc_lo
	v_add_co_u32 v11, vcc_lo, v12, v11
	v_add_co_ci_u32_e32 v11, vcc_lo, v13, v15, vcc_lo
	v_add_co_ci_u32_e32 v12, vcc_lo, 0, v16, vcc_lo
	v_add_co_u32 v10, vcc_lo, v11, v10
	v_add_co_ci_u32_e32 v11, vcc_lo, 0, v12, vcc_lo
	v_add_co_u32 v4, vcc_lo, v4, v10
	v_add_co_ci_u32_e32 v7, vcc_lo, v7, v11, vcc_lo
	v_mul_hi_u32 v16, v5, v4
	v_mad_u64_u32 v[12:13], null, v6, v4, 0
	v_mad_u64_u32 v[10:11], null, v5, v7, 0
	;; [unrolled: 1-line block ×3, first 2 shown]
	v_add_co_u32 v4, vcc_lo, v16, v10
	v_add_co_ci_u32_e32 v7, vcc_lo, 0, v11, vcc_lo
	v_add_co_u32 v4, vcc_lo, v4, v12
	v_add_co_ci_u32_e32 v4, vcc_lo, v7, v13, vcc_lo
	v_add_co_ci_u32_e32 v7, vcc_lo, 0, v15, vcc_lo
	v_add_co_u32 v4, vcc_lo, v4, v14
	v_add_co_ci_u32_e32 v7, vcc_lo, 0, v7, vcc_lo
	v_mul_lo_u32 v12, s25, v4
	v_mad_u64_u32 v[10:11], null, s24, v4, 0
	v_mul_lo_u32 v13, s24, v7
	v_sub_co_u32 v10, vcc_lo, v5, v10
	v_add3_u32 v11, v11, v13, v12
	v_sub_nc_u32_e32 v12, v6, v11
	v_subrev_co_ci_u32_e64 v12, s0, s25, v12, vcc_lo
	v_add_co_u32 v13, s0, v4, 2
	v_add_co_ci_u32_e64 v14, s0, 0, v7, s0
	v_sub_co_u32 v15, s0, v10, s24
	v_sub_co_ci_u32_e32 v11, vcc_lo, v6, v11, vcc_lo
	v_subrev_co_ci_u32_e64 v12, s0, 0, v12, s0
	v_cmp_le_u32_e32 vcc_lo, s24, v15
	v_cmp_eq_u32_e64 s0, s25, v11
	v_cndmask_b32_e64 v15, 0, -1, vcc_lo
	v_cmp_le_u32_e32 vcc_lo, s25, v12
	v_cndmask_b32_e64 v16, 0, -1, vcc_lo
	v_cmp_le_u32_e32 vcc_lo, s24, v10
	;; [unrolled: 2-line block ×3, first 2 shown]
	v_cndmask_b32_e64 v17, 0, -1, vcc_lo
	v_cmp_eq_u32_e32 vcc_lo, s25, v12
	v_cndmask_b32_e64 v10, v17, v10, s0
	v_cndmask_b32_e32 v12, v16, v15, vcc_lo
	v_add_co_u32 v15, vcc_lo, v4, 1
	v_add_co_ci_u32_e32 v16, vcc_lo, 0, v7, vcc_lo
	v_cmp_ne_u32_e32 vcc_lo, 0, v12
	v_cndmask_b32_e32 v11, v16, v14, vcc_lo
	v_cndmask_b32_e32 v12, v15, v13, vcc_lo
	v_cmp_ne_u32_e32 vcc_lo, 0, v10
	v_cndmask_b32_e32 v13, v7, v11, vcc_lo
	v_cndmask_b32_e32 v12, v4, v12, vcc_lo
.LBB0_4:                                ;   in Loop: Header=BB0_2 Depth=1
	s_andn2_saveexec_b32 s0, s1
	s_cbranch_execz .LBB0_6
; %bb.5:                                ;   in Loop: Header=BB0_2 Depth=1
	v_cvt_f32_u32_e32 v4, s24
	s_sub_i32 s1, 0, s24
	v_mov_b32_e32 v13, v3
	v_rcp_iflag_f32_e32 v4, v4
	v_mul_f32_e32 v4, 0x4f7ffffe, v4
	v_cvt_u32_f32_e32 v4, v4
	v_mul_lo_u32 v7, s1, v4
	v_mul_hi_u32 v7, v4, v7
	v_add_nc_u32_e32 v4, v4, v7
	v_mul_hi_u32 v4, v5, v4
	v_mul_lo_u32 v7, v4, s24
	v_add_nc_u32_e32 v10, 1, v4
	v_sub_nc_u32_e32 v7, v5, v7
	v_subrev_nc_u32_e32 v11, s24, v7
	v_cmp_le_u32_e32 vcc_lo, s24, v7
	v_cndmask_b32_e32 v7, v7, v11, vcc_lo
	v_cndmask_b32_e32 v4, v4, v10, vcc_lo
	v_cmp_le_u32_e32 vcc_lo, s24, v7
	v_add_nc_u32_e32 v10, 1, v4
	v_cndmask_b32_e32 v12, v4, v10, vcc_lo
.LBB0_6:                                ;   in Loop: Header=BB0_2 Depth=1
	s_or_b32 exec_lo, exec_lo, s0
	v_mul_lo_u32 v4, v13, s24
	v_mul_lo_u32 v7, v12, s25
	s_load_dwordx2 s[0:1], s[6:7], 0x0
	v_mad_u64_u32 v[10:11], null, v12, s24, 0
	s_load_dwordx2 s[24:25], s[2:3], 0x0
	s_add_u32 s22, s22, 1
	s_addc_u32 s23, s23, 0
	s_add_u32 s2, s2, 8
	s_addc_u32 s3, s3, 0
	s_add_u32 s6, s6, 8
	v_add3_u32 v4, v11, v7, v4
	v_sub_co_u32 v5, vcc_lo, v5, v10
	s_addc_u32 s7, s7, 0
	s_add_u32 s20, s20, 8
	v_sub_co_ci_u32_e32 v4, vcc_lo, v6, v4, vcc_lo
	s_addc_u32 s21, s21, 0
	s_waitcnt lgkmcnt(0)
	v_mul_lo_u32 v6, s0, v4
	v_mul_lo_u32 v7, s1, v5
	v_mad_u64_u32 v[1:2], null, s0, v5, v[1:2]
	v_mul_lo_u32 v4, s24, v4
	v_mul_lo_u32 v10, s25, v5
	v_mad_u64_u32 v[8:9], null, s24, v5, v[8:9]
	v_cmp_ge_u64_e64 s0, s[22:23], s[14:15]
	v_add3_u32 v2, v7, v2, v6
	v_add3_u32 v9, v10, v9, v4
	s_and_b32 vcc_lo, exec_lo, s0
	s_cbranch_vccnz .LBB0_9
; %bb.7:                                ;   in Loop: Header=BB0_2 Depth=1
	v_mov_b32_e32 v5, v12
	v_mov_b32_e32 v6, v13
	s_branch .LBB0_2
.LBB0_8:
	v_mov_b32_e32 v9, v2
	v_mov_b32_e32 v13, v6
	;; [unrolled: 1-line block ×4, first 2 shown]
.LBB0_9:
	s_load_dwordx2 s[0:1], s[4:5], 0x28
	v_mul_hi_u32 v15, 0x18d3019, v0
	s_lshl_b64 s[4:5], s[14:15], 3
                                        ; implicit-def: $sgpr14
                                        ; implicit-def: $sgpr6_sgpr7
                                        ; implicit-def: $vgpr14
	s_add_u32 s2, s18, s4
	s_addc_u32 s3, s19, s5
	s_waitcnt lgkmcnt(0)
	v_cmp_gt_u64_e32 vcc_lo, s[0:1], v[12:13]
	v_cmp_le_u64_e64 s0, s[0:1], v[12:13]
	s_and_saveexec_b32 s1, s0
	s_xor_b32 s0, exec_lo, s1
; %bb.10:
	v_mul_u32_u24_e32 v1, 0xa5, v15
	s_mov_b64 s[6:7], 0
	s_mov_b32 s14, 0
                                        ; implicit-def: $vgpr15
	v_sub_nc_u32_e32 v14, v0, v1
                                        ; implicit-def: $vgpr0
                                        ; implicit-def: $vgpr1_vgpr2
; %bb.11:
	s_or_saveexec_b32 s1, s0
	v_mov_b32_e32 v11, s7
	v_mov_b32_e32 v10, s6
	;; [unrolled: 1-line block ×3, first 2 shown]
                                        ; implicit-def: $vgpr31
                                        ; implicit-def: $vgpr30
                                        ; implicit-def: $vgpr25
                                        ; implicit-def: $vgpr24
                                        ; implicit-def: $vgpr20
                                        ; implicit-def: $vgpr19
                                        ; implicit-def: $vgpr16
                                        ; implicit-def: $vgpr7
                                        ; implicit-def: $vgpr4
                                        ; implicit-def: $vgpr3
                                        ; implicit-def: $vgpr29
                                        ; implicit-def: $vgpr28
                                        ; implicit-def: $vgpr27
                                        ; implicit-def: $vgpr26
                                        ; implicit-def: $vgpr22
                                        ; implicit-def: $vgpr21
                                        ; implicit-def: $vgpr18
                                        ; implicit-def: $vgpr17
                                        ; implicit-def: $vgpr6
                                        ; implicit-def: $vgpr5
	s_xor_b32 exec_lo, exec_lo, s1
	s_cbranch_execz .LBB0_13
; %bb.12:
	s_add_u32 s4, s16, s4
	s_addc_u32 s5, s17, s5
	v_lshlrev_b64 v[1:2], 2, v[1:2]
	s_load_dwordx2 s[4:5], s[4:5], 0x0
	s_waitcnt lgkmcnt(0)
	v_mul_lo_u32 v5, s5, v12
	v_mul_lo_u32 v6, s4, v13
	v_mad_u64_u32 v[3:4], null, s4, v12, 0
	v_add3_u32 v4, v4, v6, v5
	v_mul_u32_u24_e32 v5, 0xa5, v15
	v_lshlrev_b64 v[3:4], 2, v[3:4]
	v_sub_nc_u32_e32 v14, v0, v5
	v_add_co_u32 v0, s0, s8, v3
	v_add_co_ci_u32_e64 v3, s0, s9, v4, s0
	v_lshlrev_b32_e32 v4, 2, v14
	v_add_co_u32 v0, s0, v0, v1
	v_add_co_ci_u32_e64 v1, s0, v3, v2, s0
	v_add_co_u32 v0, s0, v0, v4
	v_add_co_ci_u32_e64 v1, s0, 0, v1, s0
	;; [unrolled: 2-line block ×5, first 2 shown]
	s_clause 0xa
	global_load_dword v30, v[0:1], off offset:660
	global_load_dword v24, v[0:1], off offset:1320
	;; [unrolled: 1-line block ×10, first 2 shown]
	global_load_dword v23, v[0:1], off
	v_mov_b32_e32 v15, 0
	v_mov_b32_e32 v10, v14
	;; [unrolled: 1-line block ×3, first 2 shown]
	s_waitcnt vmcnt(10)
	v_lshrrev_b32_e32 v31, 16, v30
	s_waitcnt vmcnt(9)
	v_lshrrev_b32_e32 v25, 16, v24
	;; [unrolled: 2-line block ×10, first 2 shown]
.LBB0_13:
	s_or_b32 exec_lo, exec_lo, s1
	s_waitcnt vmcnt(0)
	v_add_f16_e32 v0, v30, v23
	v_add_f16_sdwa v1, v31, v23 dst_sel:DWORD dst_unused:UNUSED_PAD src0_sel:DWORD src1_sel:WORD_1
	v_add_f16_e32 v2, v30, v28
	v_sub_f16_e32 v30, v30, v28
	v_add_f16_e32 v15, v31, v29
	v_add_f16_e32 v0, v24, v0
	;; [unrolled: 1-line block ×3, first 2 shown]
	v_sub_f16_e32 v31, v31, v29
	v_mul_f16_e32 v34, 0x36a6, v2
	v_mul_f16_e32 v35, 0xbb47, v30
	v_add_f16_e32 v0, v19, v0
	v_add_f16_e32 v1, v20, v1
	v_mul_f16_e32 v36, 0xb08e, v2
	v_fmamk_f16 v41, v31, 0x3b47, v34
	v_fmamk_f16 v42, v15, 0x36a6, v35
	v_add_f16_e32 v0, v7, v0
	v_add_f16_e32 v1, v16, v1
	v_fmac_f16_e32 v34, 0xbb47, v31
	v_fma_f16 v35, v15, 0x36a6, -v35
	v_fmamk_f16 v43, v31, 0x3beb, v36
	v_add_f16_e32 v0, v3, v0
	v_add_f16_e32 v1, v4, v1
	v_mul_f16_e32 v32, 0x3abb, v2
	v_mul_f16_e32 v33, 0xb853, v30
	;; [unrolled: 1-line block ×3, first 2 shown]
	v_add_f16_e32 v0, v5, v0
	v_add_f16_e32 v1, v6, v1
	v_mul_f16_e32 v38, 0xb93d, v2
	v_mul_f16_e32 v2, 0xbbad, v2
	v_add_f16_e32 v47, v24, v26
	v_add_f16_e32 v0, v17, v0
	;; [unrolled: 1-line block ×3, first 2 shown]
	v_sub_f16_e32 v24, v24, v26
	v_fmamk_f16 v39, v31, 0x3853, v32
	v_fmamk_f16 v40, v15, 0x3abb, v33
	v_add_f16_e32 v0, v21, v0
	v_add_f16_e32 v1, v22, v1
	v_fmac_f16_e32 v32, 0xb853, v31
	v_fma_f16 v33, v15, 0x3abb, -v33
	v_fmac_f16_e32 v36, 0xbbeb, v31
	v_add_f16_e32 v0, v26, v0
	v_add_f16_e32 v1, v27, v1
	v_fmamk_f16 v45, v31, 0x3482, v2
	v_sub_f16_e32 v26, v25, v27
	v_mul_f16_e32 v48, 0x36a6, v47
	v_add_f16_e32 v0, v28, v0
	v_add_f16_sdwa v1, v29, v1 dst_sel:WORD_1 dst_unused:UNUSED_PAD src0_sel:DWORD src1_sel:DWORD
	v_add_f16_e32 v29, v34, v23
	v_add_f16_sdwa v34, v35, v23 dst_sel:DWORD dst_unused:UNUSED_PAD src0_sel:DWORD src1_sel:WORD_1
	v_add_f16_e32 v35, v43, v23
	v_mul_f16_e32 v43, 0xba0c, v30
	v_mul_f16_e32 v30, 0xb482, v30
	v_add_f16_sdwa v28, v42, v23 dst_sel:DWORD dst_unused:UNUSED_PAD src0_sel:DWORD src1_sel:WORD_1
	v_or_b32_sdwa v0, v1, v0 dst_sel:DWORD dst_unused:UNUSED_PAD src0_sel:DWORD src1_sel:WORD_0
	v_fmamk_f16 v1, v15, 0xb08e, v37
	v_fma_f16 v37, v15, 0xb08e, -v37
	v_fmamk_f16 v42, v31, 0x3a0c, v38
	v_fmamk_f16 v44, v15, 0xb93d, v43
	v_fmac_f16_e32 v38, 0xba0c, v31
	v_fma_f16 v43, v15, 0xb93d, -v43
	v_fmamk_f16 v46, v15, 0xbbad, v30
	v_fmac_f16_e32 v2, 0xb482, v31
	v_fma_f16 v15, v15, 0xbbad, -v30
	v_add_f16_e32 v25, v25, v27
	v_mul_f16_e32 v27, 0xbb47, v24
	v_add_f16_e32 v39, v39, v23
	v_add_f16_sdwa v40, v40, v23 dst_sel:DWORD dst_unused:UNUSED_PAD src0_sel:DWORD src1_sel:WORD_1
	v_add_f16_e32 v32, v32, v23
	v_add_f16_sdwa v33, v33, v23 dst_sel:DWORD dst_unused:UNUSED_PAD src0_sel:DWORD src1_sel:WORD_1
	;; [unrolled: 2-line block ×7, first 2 shown]
	v_fmamk_f16 v30, v26, 0x3b47, v48
	v_add_f16_e32 v2, v2, v23
	v_add_f16_sdwa v15, v15, v23 dst_sel:DWORD dst_unused:UNUSED_PAD src0_sel:DWORD src1_sel:WORD_1
	v_mul_f16_e32 v23, 0xb93d, v47
	v_fmamk_f16 v31, v25, 0x36a6, v27
	v_add_f16_e32 v30, v30, v39
	v_fmac_f16_e32 v48, 0xbb47, v26
	v_fma_f16 v27, v25, 0x36a6, -v27
	v_fmamk_f16 v39, v26, 0x3a0c, v23
	v_add_f16_e32 v31, v31, v40
	v_mul_f16_e32 v40, 0xba0c, v24
	v_add_f16_e32 v32, v48, v32
	v_add_f16_e32 v27, v27, v33
	;; [unrolled: 1-line block ×3, first 2 shown]
	v_fmac_f16_e32 v23, 0xba0c, v26
	v_fmamk_f16 v41, v25, 0xb93d, v40
	v_fma_f16 v40, v25, 0xb93d, -v40
	v_mul_f16_e32 v48, 0x3482, v24
	v_mul_f16_e32 v39, 0xbbad, v47
	v_add_f16_e32 v23, v23, v29
	v_add_f16_e32 v28, v41, v28
	;; [unrolled: 1-line block ×3, first 2 shown]
	v_fmamk_f16 v34, v25, 0xbbad, v48
	v_fma_f16 v41, v25, 0xbbad, -v48
	v_fmamk_f16 v49, v26, 0xb482, v39
	v_fmac_f16_e32 v39, 0x3482, v26
	v_mul_f16_e32 v40, 0xb08e, v47
	v_add_f16_e32 v1, v34, v1
	v_mul_f16_e32 v34, 0x3beb, v24
	v_add_f16_e32 v37, v41, v37
	v_add_f16_e32 v36, v39, v36
	v_mul_f16_e32 v39, 0x3abb, v47
	v_mul_f16_e32 v24, 0x3853, v24
	v_fmamk_f16 v41, v25, 0xb08e, v34
	v_fma_f16 v34, v25, 0xb08e, -v34
	v_fmamk_f16 v48, v26, 0xbbeb, v40
	v_fmac_f16_e32 v40, 0x3beb, v26
	v_fmamk_f16 v47, v26, 0xb853, v39
	v_add_f16_e32 v41, v41, v44
	v_add_f16_e32 v34, v34, v43
	;; [unrolled: 1-line block ×3, first 2 shown]
	v_sub_f16_e32 v19, v19, v21
	v_fmamk_f16 v44, v25, 0x3abb, v24
	v_fmac_f16_e32 v39, 0x3853, v26
	v_sub_f16_e32 v21, v20, v22
	v_mul_f16_e32 v26, 0xb08e, v43
	v_fma_f16 v24, v25, 0x3abb, -v24
	v_add_f16_e32 v20, v20, v22
	v_mul_f16_e32 v22, 0xbbeb, v19
	v_add_f16_e32 v25, v44, v46
	v_fmamk_f16 v44, v21, 0x3beb, v26
	v_add_f16_e32 v2, v39, v2
	v_add_f16_e32 v15, v24, v15
	v_fmamk_f16 v24, v20, 0xb08e, v22
	v_mul_f16_e32 v39, 0xbbad, v43
	v_fma_f16 v22, v20, 0xb08e, -v22
	v_add_f16_e32 v30, v44, v30
	v_fmac_f16_e32 v26, 0xbbeb, v21
	v_add_f16_e32 v24, v24, v31
	v_fmamk_f16 v31, v21, 0xb482, v39
	v_mul_f16_e32 v44, 0x3482, v19
	v_add_f16_e32 v22, v22, v27
	v_mul_f16_e32 v27, 0x36a6, v43
	v_add_f16_e32 v35, v49, v35
	v_add_f16_e32 v38, v40, v38
	;; [unrolled: 1-line block ×5, first 2 shown]
	v_fmamk_f16 v32, v20, 0xbbad, v44
	v_fmac_f16_e32 v39, 0x3482, v21
	v_fma_f16 v33, v20, 0xbbad, -v44
	v_fmamk_f16 v44, v21, 0xbb47, v27
	v_mul_f16_e32 v45, 0x3b47, v19
	v_add_f16_e32 v28, v32, v28
	v_add_f16_e32 v23, v39, v23
	;; [unrolled: 1-line block ×4, first 2 shown]
	v_fmamk_f16 v33, v20, 0x36a6, v45
	v_mul_f16_e32 v35, 0x3abb, v43
	v_fmac_f16_e32 v27, 0x3b47, v21
	v_fma_f16 v39, v20, 0x36a6, -v45
	v_mul_f16_e32 v44, 0xb853, v19
	v_add_f16_e32 v1, v33, v1
	v_fmamk_f16 v33, v21, 0x3853, v35
	v_add_f16_e32 v27, v27, v36
	v_add_f16_e32 v36, v39, v37
	v_fmamk_f16 v37, v20, 0x3abb, v44
	v_mul_f16_e32 v39, 0xb93d, v43
	v_fmac_f16_e32 v35, 0xb853, v21
	v_add_f16_e32 v42, v48, v42
	v_mul_f16_e32 v19, 0xba0c, v19
	v_add_f16_e32 v37, v37, v41
	v_fmamk_f16 v41, v21, 0x3a0c, v39
	v_add_f16_e32 v35, v35, v38
	v_add_f16_e32 v38, v7, v17
	v_sub_f16_e32 v7, v7, v17
	v_add_f16_e32 v33, v33, v42
	v_fma_f16 v42, v20, 0x3abb, -v44
	v_add_f16_e32 v40, v41, v40
	v_fmamk_f16 v41, v20, 0xb93d, v19
	v_sub_f16_e32 v17, v16, v18
	v_fma_f16 v19, v20, 0xb93d, -v19
	v_add_f16_e32 v16, v16, v18
	v_mul_f16_e32 v18, 0xba0c, v7
	v_add_f16_e32 v34, v42, v34
	v_mul_f16_e32 v42, 0xb93d, v38
	v_add_f16_e32 v15, v19, v15
	v_fmac_f16_e32 v39, 0xba0c, v21
	v_fmamk_f16 v19, v16, 0xb93d, v18
	v_add_f16_e32 v21, v41, v25
	v_fmamk_f16 v20, v17, 0x3a0c, v42
	v_mul_f16_e32 v25, 0xb08e, v38
	v_fma_f16 v18, v16, 0xb93d, -v18
	v_add_f16_e32 v19, v19, v24
	v_mul_f16_e32 v24, 0x3beb, v7
	v_add_f16_e32 v2, v39, v2
	v_add_f16_e32 v20, v20, v30
	v_fmamk_f16 v30, v17, 0xbbeb, v25
	v_add_f16_e32 v18, v18, v22
	v_mul_f16_e32 v22, 0x3abb, v38
	v_fmamk_f16 v39, v16, 0xb08e, v24
	v_fma_f16 v24, v16, 0xb08e, -v24
	v_add_f16_e32 v30, v30, v31
	v_fmac_f16_e32 v25, 0x3beb, v17
	v_fmamk_f16 v31, v17, 0x3853, v22
	v_add_f16_e32 v28, v39, v28
	v_mul_f16_e32 v39, 0xb853, v7
	v_add_f16_e32 v24, v24, v29
	v_mul_f16_e32 v29, 0xbbad, v38
	v_add_f16_e32 v23, v25, v23
	v_add_f16_e32 v25, v31, v32
	v_fmamk_f16 v31, v16, 0x3abb, v39
	v_fmac_f16_e32 v22, 0xb853, v17
	v_fma_f16 v32, v16, 0x3abb, -v39
	v_mul_f16_e32 v39, 0xb482, v7
	v_fmamk_f16 v41, v17, 0x3482, v29
	v_add_f16_e32 v1, v31, v1
	v_add_f16_e32 v22, v22, v27
	;; [unrolled: 1-line block ×3, first 2 shown]
	v_fmamk_f16 v31, v16, 0xbbad, v39
	v_add_f16_e32 v32, v41, v33
	v_mul_f16_e32 v33, 0x36a6, v38
	v_mul_f16_e32 v7, 0x3b47, v7
	v_fmac_f16_e32 v29, 0xb482, v17
	v_add_f16_e32 v31, v31, v37
	v_fma_f16 v36, v16, 0xbbad, -v39
	v_fmamk_f16 v37, v17, 0xbb47, v33
	v_fmamk_f16 v38, v16, 0x36a6, v7
	v_add_f16_e32 v29, v29, v35
	v_add_f16_e32 v35, v3, v5
	v_fmac_f16_e32 v42, 0xba0c, v17
	v_add_f16_e32 v34, v36, v34
	v_add_f16_e32 v36, v37, v40
	v_add_f16_e32 v21, v38, v21
	v_sub_f16_e32 v37, v4, v6
	v_mul_f16_e32 v38, 0xbbad, v35
	v_sub_f16_e32 v3, v3, v5
	v_add_f16_e32 v26, v42, v26
	v_fmac_f16_e32 v33, 0x3b47, v17
	v_fma_f16 v5, v16, 0x36a6, -v7
	v_add_f16_e32 v4, v4, v6
	v_fmamk_f16 v6, v37, 0x3482, v38
	v_mul_f16_e32 v7, 0xb482, v3
	v_mul_f16_e32 v17, 0x3abb, v35
	v_fmac_f16_e32 v38, 0xb482, v37
	v_add_f16_e32 v2, v33, v2
	v_add_f16_e32 v5, v5, v15
	;; [unrolled: 1-line block ×3, first 2 shown]
	v_fmamk_f16 v6, v4, 0xbbad, v7
	v_fma_f16 v7, v4, 0xbbad, -v7
	v_fmamk_f16 v33, v37, 0xb853, v17
	v_mul_f16_e32 v39, 0x3853, v3
	v_add_f16_e32 v15, v38, v26
	v_mul_f16_e32 v26, 0xb93d, v35
	v_add_f16_e32 v19, v6, v19
	v_add_f16_e32 v16, v7, v18
	;; [unrolled: 1-line block ×3, first 2 shown]
	v_fmamk_f16 v6, v4, 0x3abb, v39
	v_fmac_f16_e32 v17, 0x3853, v37
	v_fma_f16 v7, v4, 0x3abb, -v39
	v_mul_f16_e32 v30, 0xba0c, v3
	v_fmamk_f16 v33, v37, 0x3a0c, v26
	v_add_f16_e32 v28, v6, v28
	v_add_f16_e32 v6, v17, v23
	;; [unrolled: 1-line block ×3, first 2 shown]
	v_fmamk_f16 v17, v4, 0xb93d, v30
	v_mul_f16_e32 v23, 0x36a6, v35
	v_add_f16_e32 v24, v33, v25
	v_fmac_f16_e32 v26, 0xba0c, v37
	v_fma_f16 v25, v4, 0xb93d, -v30
	v_mul_f16_e32 v30, 0x3b47, v3
	v_add_f16_e32 v1, v17, v1
	v_fmamk_f16 v17, v37, 0xbb47, v23
	v_add_f16_e32 v22, v26, v22
	v_add_f16_e32 v25, v25, v27
	v_mul_f16_e32 v26, 0xb08e, v35
	v_fmamk_f16 v27, v4, 0x36a6, v30
	v_mul_f16_e32 v3, 0xbbeb, v3
	v_add_f16_e32 v17, v17, v32
	v_fmac_f16_e32 v23, 0x3b47, v37
	v_fma_f16 v30, v4, 0x36a6, -v30
	v_fmamk_f16 v32, v37, 0x3beb, v26
	v_add_f16_e32 v27, v27, v31
	v_fmamk_f16 v31, v4, 0xb08e, v3
	v_fmac_f16_e32 v26, 0xbbeb, v37
	v_fma_f16 v3, v4, 0xb08e, -v3
	v_add_f16_e32 v23, v23, v29
	v_add_f16_e32 v29, v30, v34
	;; [unrolled: 1-line block ×3, first 2 shown]
	v_mad_u32_u24 v32, v14, 44, 0
	v_pack_b32_f16 v4, v18, v28
	v_pack_b32_f16 v18, v20, v19
	v_add_f16_e32 v19, v31, v21
	v_add_f16_e32 v2, v26, v2
	;; [unrolled: 1-line block ×3, first 2 shown]
	s_load_dwordx2 s[2:3], s[2:3], 0x0
	ds_write_b32 v32, v0
	ds_write2_b32 v32, v18, v4 offset0:1 offset1:2
	v_pack_b32_f16 v0, v17, v27
	v_pack_b32_f16 v1, v24, v1
	;; [unrolled: 1-line block ×4, first 2 shown]
	v_mad_i32_i24 v19, 0xffffffd8, v14, v32
	v_pack_b32_f16 v4, v22, v25
	v_pack_b32_f16 v5, v23, v29
	;; [unrolled: 1-line block ×4, first 2 shown]
	ds_write2_b32 v32, v1, v0 offset0:3 offset1:4
	ds_write2_b32 v32, v3, v2 offset0:5 offset1:6
	;; [unrolled: 1-line block ×4, first 2 shown]
	v_add_nc_u32_e32 v2, 0x900, v19
	v_add_nc_u32_e32 v3, 0x1200, v19
	s_waitcnt lgkmcnt(0)
	s_barrier
	buffer_gl0_inv
	ds_read2_b32 v[0:1], v19 offset1:165
	ds_read2_b32 v[4:5], v2 offset0:29 offset1:194
	ds_read2_b32 v[2:3], v3 offset0:58 offset1:223
	ds_read_b32 v23, v19 offset:1320
	ds_read_b32 v20, v19 offset:3740
	;; [unrolled: 1-line block ×3, first 2 shown]
	v_mul_i32_i24_e32 v17, 0xffffffd8, v14
	v_cmp_gt_u32_e64 s0, 0x6e, v14
                                        ; implicit-def: $vgpr22
                                        ; implicit-def: $vgpr21
	v_add_nc_u32_e32 v17, v32, v17
	s_and_saveexec_b32 s1, s0
	s_cbranch_execz .LBB0_15
; %bb.14:
	ds_read_b32 v6, v17 offset:1980
	ds_read_b32 v21, v17 offset:6820
	;; [unrolled: 1-line block ×3, first 2 shown]
	s_waitcnt lgkmcnt(2)
	v_lshrrev_b32_e32 v7, 16, v6
	s_waitcnt lgkmcnt(1)
	v_lshrrev_b32_e32 v22, 16, v21
	;; [unrolled: 2-line block ×3, first 2 shown]
.LBB0_15:
	s_or_b32 exec_lo, exec_lo, s1
	v_and_b32_e32 v30, 0xff, v14
	v_add_nc_u32_e32 v29, 0xa5, v14
	v_mov_b32_e32 v25, 0xba2f
	v_add_nc_u32_e32 v28, 0x1ef, v14
	v_mov_b32_e32 v35, 3
	v_mul_lo_u16 v18, 0x75, v30
	s_waitcnt lgkmcnt(4)
	v_lshrrev_b32_e32 v47, 16, v4
	v_mul_u32_u24_sdwa v26, v29, v25 dst_sel:DWORD dst_unused:UNUSED_PAD src0_sel:WORD_0 src1_sel:DWORD
	s_waitcnt lgkmcnt(3)
	v_lshrrev_b32_e32 v48, 16, v2
	v_lshrrev_b32_e32 v49, 16, v5
	v_lshrrev_b16 v18, 8, v18
	v_lshrrev_b32_e32 v50, 16, v3
	v_lshrrev_b32_e32 v39, 19, v26
	s_waitcnt lgkmcnt(1)
	v_lshrrev_b32_e32 v51, 16, v20
	s_waitcnt lgkmcnt(0)
	v_lshrrev_b32_e32 v52, 16, v19
	v_sub_nc_u16 v24, v14, v18
	v_lshrrev_b32_e32 v44, 16, v0
	v_mul_lo_u16 v31, v39, 11
	v_lshrrev_b32_e32 v45, 16, v1
	v_lshrrev_b32_e32 v46, 16, v23
	v_lshrrev_b16 v24, 1, v24
	v_sub_nc_u16 v42, v29, v31
	v_and_b32_e32 v24, 0x7f, v24
	v_lshlrev_b32_sdwa v34, v35, v42 dst_sel:DWORD dst_unused:UNUSED_PAD src0_sel:DWORD src1_sel:WORD_0
	v_add_nc_u16 v24, v24, v18
	v_add_nc_u32_e32 v18, 0x14a, v14
	v_lshrrev_b16 v27, 3, v24
	v_mul_u32_u24_sdwa v24, v18, v25 dst_sel:DWORD dst_unused:UNUSED_PAD src0_sel:WORD_0 src1_sel:DWORD
	v_mul_u32_u24_sdwa v25, v28, v25 dst_sel:DWORD dst_unused:UNUSED_PAD src0_sel:WORD_0 src1_sel:DWORD
	v_mul_lo_u16 v26, v27, 11
	v_lshrrev_b32_e32 v40, 19, v24
	v_lshrrev_b32_e32 v24, 19, v25
	v_sub_nc_u16 v41, v14, v26
	v_mul_lo_u16 v25, v40, 11
	v_mul_lo_u16 v33, v24, 11
	v_mul_u32_u24_e32 v40, 0x84, v40
	v_lshlrev_b32_sdwa v26, v35, v41 dst_sel:DWORD dst_unused:UNUSED_PAD src0_sel:DWORD src1_sel:BYTE_0
	v_sub_nc_u16 v43, v18, v25
	v_sub_nc_u16 v25, v28, v33
	s_clause 0x1
	global_load_dwordx2 v[33:34], v34, s[12:13]
	global_load_dwordx2 v[31:32], v26, s[12:13]
	v_lshlrev_b32_sdwa v26, v35, v43 dst_sel:DWORD dst_unused:UNUSED_PAD src0_sel:DWORD src1_sel:WORD_0
	v_lshlrev_b32_sdwa v28, v35, v25 dst_sel:DWORD dst_unused:UNUSED_PAD src0_sel:DWORD src1_sel:WORD_0
	s_clause 0x1
	global_load_dwordx2 v[35:36], v26, s[12:13]
	global_load_dwordx2 v[37:38], v28, s[12:13]
	v_mov_b32_e32 v26, 2
	v_mul_u32_u24_e32 v28, 0x84, v39
	s_waitcnt vmcnt(0)
	s_barrier
	buffer_gl0_inv
	v_lshlrev_b32_sdwa v39, v26, v42 dst_sel:DWORD dst_unused:UNUSED_PAD src0_sel:DWORD src1_sel:WORD_0
	v_mov_b32_e32 v42, 0x84
	v_lshlrev_b32_sdwa v43, v26, v43 dst_sel:DWORD dst_unused:UNUSED_PAD src0_sel:DWORD src1_sel:WORD_0
	v_add3_u32 v39, 0, v28, v39
	v_mul_u32_u24_sdwa v27, v27, v42 dst_sel:DWORD dst_unused:UNUSED_PAD src0_sel:WORD_0 src1_sel:DWORD
	v_lshlrev_b32_sdwa v28, v26, v41 dst_sel:DWORD dst_unused:UNUSED_PAD src0_sel:DWORD src1_sel:BYTE_0
	v_add3_u32 v40, 0, v40, v43
	v_add3_u32 v41, 0, v27, v28
	v_mul_f16_sdwa v55, v33, v49 dst_sel:DWORD dst_unused:UNUSED_PAD src0_sel:WORD_1 src1_sel:DWORD
	v_mul_f16_sdwa v56, v33, v5 dst_sel:DWORD dst_unused:UNUSED_PAD src0_sel:WORD_1 src1_sel:DWORD
	;; [unrolled: 1-line block ×12, first 2 shown]
	v_mul_f16_sdwa v63, v16, v37 dst_sel:DWORD dst_unused:UNUSED_PAD src0_sel:DWORD src1_sel:WORD_1
	v_mul_f16_sdwa v28, v15, v37 dst_sel:DWORD dst_unused:UNUSED_PAD src0_sel:DWORD src1_sel:WORD_1
	;; [unrolled: 1-line block ×4, first 2 shown]
	v_fma_f16 v4, v31, v4, -v42
	v_fmac_f16_e32 v43, v31, v47
	v_fma_f16 v31, v32, v2, -v53
	v_fmac_f16_e32 v54, v32, v48
	v_fma_f16 v5, v33, v5, -v55
	v_fmac_f16_e32 v56, v33, v49
	v_fma_f16 v32, v34, v3, -v57
	v_fmac_f16_e32 v58, v34, v50
	v_fma_f16 v20, v35, v20, -v59
	v_fmac_f16_e32 v60, v35, v51
	v_fma_f16 v19, v36, v19, -v61
	v_fmac_f16_e32 v62, v36, v52
	v_fma_f16 v3, v15, v37, -v63
	v_fmac_f16_e32 v28, v16, v37
	v_fma_f16 v2, v21, v38, -v64
	v_fmac_f16_e32 v27, v22, v38
	v_add_f16_e32 v16, v4, v31
	v_add_f16_e32 v33, v43, v54
	;; [unrolled: 1-line block ×4, first 2 shown]
	v_sub_f16_e32 v21, v43, v54
	v_add_f16_e32 v22, v44, v43
	v_add_f16_e32 v43, v20, v19
	;; [unrolled: 1-line block ×4, first 2 shown]
	v_sub_f16_e32 v4, v4, v31
	v_add_f16_e32 v34, v1, v5
	v_add_f16_e32 v37, v45, v56
	;; [unrolled: 1-line block ×3, first 2 shown]
	v_sub_f16_e32 v50, v20, v19
	v_add_f16_e32 v20, v3, v2
	v_add_f16_e32 v52, v28, v27
	v_fma_f16 v0, -0.5, v16, v0
	v_fmac_f16_e32 v44, -0.5, v33
	v_sub_f16_e32 v36, v56, v58
	v_sub_f16_e32 v5, v5, v32
	v_fmac_f16_e32 v1, -0.5, v35
	v_fmac_f16_e32 v45, -0.5, v38
	v_sub_f16_e32 v47, v60, v62
	v_add_f16_e32 v48, v46, v60
	v_fmac_f16_e32 v23, -0.5, v43
	v_fmac_f16_e32 v46, -0.5, v49
	v_sub_f16_e32 v51, v28, v27
	v_sub_f16_e32 v53, v3, v2
	v_add_f16_e32 v15, v15, v31
	v_add_f16_e32 v16, v22, v54
	;; [unrolled: 1-line block ×4, first 2 shown]
	v_fma_f16 v20, -0.5, v20, v6
	v_fma_f16 v22, -0.5, v52, v7
	v_fmamk_f16 v35, v21, 0x3aee, v0
	v_fmamk_f16 v37, v4, 0xbaee, v44
	v_fmac_f16_e32 v0, 0xbaee, v21
	v_fmac_f16_e32 v44, 0x3aee, v4
	v_fmamk_f16 v4, v36, 0x3aee, v1
	v_fmac_f16_e32 v1, 0xbaee, v36
	v_fmamk_f16 v36, v5, 0xbaee, v45
	v_fmac_f16_e32 v45, 0x3aee, v5
	v_add_f16_e32 v33, v42, v19
	v_add_f16_e32 v34, v48, v62
	v_fmamk_f16 v5, v47, 0x3aee, v23
	v_fmamk_f16 v38, v50, 0xbaee, v46
	v_fmac_f16_e32 v23, 0xbaee, v47
	v_fmac_f16_e32 v46, 0x3aee, v50
	v_fmamk_f16 v19, v51, 0x3aee, v20
	v_fmac_f16_e32 v20, 0xbaee, v51
	v_fmamk_f16 v21, v53, 0xbaee, v22
	v_fmac_f16_e32 v22, 0x3aee, v53
	v_pack_b32_f16 v15, v15, v16
	v_pack_b32_f16 v16, v31, v32
	;; [unrolled: 1-line block ×9, first 2 shown]
	ds_write2_b32 v41, v15, v32 offset1:11
	ds_write_b32 v41, v0 offset:88
	ds_write2_b32 v39, v16, v4 offset1:11
	ds_write_b32 v39, v1 offset:88
	;; [unrolled: 2-line block ×3, first 2 shown]
	s_and_saveexec_b32 s1, s0
	s_cbranch_execz .LBB0_17
; %bb.16:
	v_add_f16_e32 v0, v7, v28
	v_mul_lo_u16 v1, v24, 33
	v_add_f16_e32 v3, v6, v3
	v_lshlrev_b32_sdwa v4, v26, v25 dst_sel:DWORD dst_unused:UNUSED_PAD src0_sel:DWORD src1_sel:WORD_0
	v_add_f16_e32 v0, v0, v27
	v_lshlrev_b32_sdwa v1, v26, v1 dst_sel:DWORD dst_unused:UNUSED_PAD src0_sel:DWORD src1_sel:WORD_0
	v_add_f16_e32 v2, v3, v2
	v_perm_b32 v3, v21, v19, 0x5040100
	v_add3_u32 v1, 0, v4, v1
	v_pack_b32_f16 v0, v2, v0
	v_perm_b32 v2, v22, v20, 0x5040100
	ds_write2_b32 v1, v0, v3 offset1:11
	ds_write_b32 v1, v2 offset:88
.LBB0_17:
	s_or_b32 exec_lo, exec_lo, s1
	v_add_nc_u32_e32 v2, 0x500, v17
	v_add_nc_u32_e32 v3, 0xa00, v17
	;; [unrolled: 1-line block ×4, first 2 shown]
	s_waitcnt lgkmcnt(0)
	s_barrier
	buffer_gl0_inv
	ds_read2_b32 v[0:1], v17 offset1:165
	ds_read2_b32 v[15:16], v2 offset0:43 offset1:208
	ds_read2_b32 v[6:7], v3 offset0:86 offset1:251
	;; [unrolled: 1-line block ×4, first 2 shown]
	v_cmp_gt_u32_e64 s0, 33, v14
                                        ; implicit-def: $vgpr26
                                        ; implicit-def: $vgpr25
                                        ; implicit-def: $vgpr27
                                        ; implicit-def: $vgpr24
                                        ; implicit-def: $vgpr28
                                        ; implicit-def: $vgpr23
	s_and_saveexec_b32 s1, s0
	s_cbranch_execz .LBB0_19
; %bb.18:
	ds_read_b32 v19, v17 offset:1320
	ds_read_b32 v20, v17 offset:2772
	;; [unrolled: 1-line block ×5, first 2 shown]
	s_waitcnt lgkmcnt(4)
	v_lshrrev_b32_e32 v21, 16, v19
	s_waitcnt lgkmcnt(3)
	v_lshrrev_b32_e32 v22, 16, v20
	;; [unrolled: 2-line block ×5, first 2 shown]
.LBB0_19:
	s_or_b32 exec_lo, exec_lo, s1
	v_mul_lo_u16 v30, 0xf9, v30
	v_mov_b32_e32 v35, 4
	v_mov_b32_e32 v47, 0x294
	v_mov_b32_e32 v48, 2
	s_waitcnt lgkmcnt(3)
	v_lshrrev_b32_e32 v44, 16, v15
	v_lshrrev_b16 v39, 13, v30
	v_mov_b32_e32 v30, 0xf83f
	s_waitcnt lgkmcnt(2)
	v_lshrrev_b32_e32 v45, 16, v6
	s_waitcnt lgkmcnt(1)
	v_lshrrev_b32_e32 v46, 16, v4
	;; [unrolled: 2-line block ×3, first 2 shown]
	v_mul_lo_u16 v31, v39, 33
	v_mul_u32_u24_sdwa v39, v39, v47 dst_sel:DWORD dst_unused:UNUSED_PAD src0_sel:WORD_0 src1_sel:DWORD
	v_lshrrev_b32_e32 v50, 16, v16
	v_lshrrev_b32_e32 v51, 16, v7
	;; [unrolled: 1-line block ×3, first 2 shown]
	v_sub_nc_u16 v40, v14, v31
	v_mul_u32_u24_sdwa v31, v29, v30 dst_sel:DWORD dst_unused:UNUSED_PAD src0_sel:WORD_0 src1_sel:DWORD
	v_lshrrev_b32_e32 v52, 16, v3
	v_lshrrev_b32_e32 v42, 16, v0
	;; [unrolled: 1-line block ×3, first 2 shown]
	v_lshlrev_b32_sdwa v32, v35, v40 dst_sel:DWORD dst_unused:UNUSED_PAD src0_sel:DWORD src1_sel:BYTE_0
	v_lshrrev_b32_e32 v41, 21, v31
	v_lshlrev_b32_sdwa v40, v48, v40 dst_sel:DWORD dst_unused:UNUSED_PAD src0_sel:DWORD src1_sel:BYTE_0
	global_load_dwordx4 v[31:34], v32, s[12:13] offset:88
	v_mul_lo_u16 v36, v41, 33
	v_mul_u32_u24_e32 v41, 0x294, v41
	v_add3_u32 v39, 0, v39, v40
	v_sub_nc_u16 v29, v29, v36
	v_lshlrev_b32_sdwa v35, v35, v29 dst_sel:DWORD dst_unused:UNUSED_PAD src0_sel:DWORD src1_sel:WORD_0
	v_lshlrev_b32_sdwa v29, v48, v29 dst_sel:DWORD dst_unused:UNUSED_PAD src0_sel:DWORD src1_sel:WORD_0
	global_load_dwordx4 v[35:38], v35, s[12:13] offset:88
	v_add3_u32 v29, 0, v41, v29
	s_waitcnt vmcnt(0)
	s_barrier
	buffer_gl0_inv
	v_mul_f16_sdwa v40, v31, v44 dst_sel:DWORD dst_unused:UNUSED_PAD src0_sel:WORD_1 src1_sel:DWORD
	v_mul_f16_sdwa v41, v31, v15 dst_sel:DWORD dst_unused:UNUSED_PAD src0_sel:WORD_1 src1_sel:DWORD
	;; [unrolled: 1-line block ×8, first 2 shown]
	v_fma_f16 v15, v31, v15, -v40
	v_fmac_f16_e32 v41, v31, v44
	v_fma_f16 v6, v32, v6, -v48
	v_fmac_f16_e32 v53, v32, v45
	v_fma_f16 v4, v33, v4, -v54
	v_fmac_f16_e32 v55, v33, v46
	v_fma_f16 v2, v34, v2, -v56
	v_fmac_f16_e32 v57, v34, v49
	v_mul_f16_sdwa v31, v35, v50 dst_sel:DWORD dst_unused:UNUSED_PAD src0_sel:WORD_1 src1_sel:DWORD
	v_mul_f16_sdwa v33, v36, v51 dst_sel:DWORD dst_unused:UNUSED_PAD src0_sel:WORD_1 src1_sel:DWORD
	;; [unrolled: 1-line block ×8, first 2 shown]
	v_fma_f16 v16, v35, v16, -v31
	v_fma_f16 v7, v36, v7, -v33
	v_fmac_f16_e32 v34, v36, v51
	v_fma_f16 v5, v37, v5, -v40
	v_fmac_f16_e32 v44, v37, v47
	;; [unrolled: 2-line block ×3, first 2 shown]
	v_add_f16_e32 v31, v0, v15
	v_add_f16_e32 v33, v6, v4
	v_sub_f16_e32 v37, v15, v6
	v_sub_f16_e32 v38, v2, v4
	v_add_f16_e32 v40, v15, v2
	v_sub_f16_e32 v45, v6, v15
	v_sub_f16_e32 v47, v4, v2
	v_add_f16_e32 v48, v42, v41
	v_add_f16_e32 v49, v53, v55
	v_sub_f16_e32 v51, v41, v53
	v_sub_f16_e32 v52, v57, v55
	v_fmac_f16_e32 v32, v35, v50
	v_add_f16_e32 v54, v41, v57
	v_sub_f16_e32 v35, v41, v57
	v_sub_f16_e32 v36, v53, v55
	;; [unrolled: 1-line block ×6, first 2 shown]
	v_add_f16_e32 v6, v31, v6
	v_fma_f16 v31, -0.5, v33, v0
	v_add_f16_e32 v33, v37, v38
	v_fma_f16 v0, -0.5, v40, v0
	v_add_f16_e32 v37, v45, v47
	v_add_f16_e32 v38, v48, v53
	v_fma_f16 v40, -0.5, v49, v42
	v_add_f16_e32 v45, v51, v52
	v_add_f16_e32 v47, v1, v16
	v_add_f16_e32 v48, v7, v5
	v_sub_f16_e32 v52, v16, v7
	v_sub_f16_e32 v53, v3, v5
	v_add_f16_e32 v60, v34, v44
	v_fmac_f16_e32 v42, -0.5, v54
	v_add_f16_e32 v54, v16, v3
	v_add_f16_e32 v64, v32, v46
	;; [unrolled: 1-line block ×3, first 2 shown]
	v_sub_f16_e32 v49, v32, v46
	v_sub_f16_e32 v56, v7, v16
	v_add_f16_e32 v59, v43, v32
	v_sub_f16_e32 v16, v16, v3
	v_sub_f16_e32 v61, v7, v5
	v_add_f16_e32 v4, v6, v4
	v_fmamk_f16 v6, v35, 0x3b9c, v31
	v_fmamk_f16 v66, v36, 0xbb9c, v0
	v_fmac_f16_e32 v0, 0x3b9c, v36
	v_add_f16_e32 v38, v38, v55
	v_fmamk_f16 v55, v15, 0xbb9c, v40
	v_add_f16_e32 v7, v47, v7
	v_fma_f16 v47, -0.5, v48, v1
	v_add_f16_e32 v48, v52, v53
	v_fma_f16 v53, -0.5, v60, v43
	v_sub_f16_e32 v51, v34, v44
	v_fmac_f16_e32 v31, 0xbb9c, v35
	v_fmamk_f16 v67, v50, 0x3b9c, v42
	v_fmac_f16_e32 v42, 0xbb9c, v50
	v_fmac_f16_e32 v1, -0.5, v54
	v_fmac_f16_e32 v43, -0.5, v64
	v_fmac_f16_e32 v40, 0x3b9c, v15
	v_sub_f16_e32 v58, v5, v3
	v_sub_f16_e32 v62, v32, v34
	;; [unrolled: 1-line block ×4, first 2 shown]
	v_add_f16_e32 v34, v59, v34
	v_fmac_f16_e32 v6, 0x38b4, v36
	v_fmac_f16_e32 v66, 0x38b4, v35
	v_fmac_f16_e32 v0, 0xb8b4, v35
	v_fmac_f16_e32 v55, 0xb8b4, v50
	v_add_f16_e32 v5, v7, v5
	v_fmamk_f16 v7, v49, 0x3b9c, v47
	v_fmamk_f16 v35, v16, 0xbb9c, v53
	v_sub_f16_e32 v65, v44, v46
	v_fmac_f16_e32 v31, 0xb8b4, v36
	v_fmac_f16_e32 v67, 0xb8b4, v15
	;; [unrolled: 1-line block ×3, first 2 shown]
	v_fmamk_f16 v15, v51, 0xbb9c, v1
	v_fmac_f16_e32 v1, 0x3b9c, v51
	v_fmamk_f16 v36, v61, 0x3b9c, v43
	v_fmac_f16_e32 v43, 0xbb9c, v61
	v_fmac_f16_e32 v47, 0xbb9c, v49
	;; [unrolled: 1-line block ×4, first 2 shown]
	v_add_f16_e32 v54, v62, v63
	v_add_f16_e32 v2, v4, v2
	;; [unrolled: 1-line block ×4, first 2 shown]
	v_fmac_f16_e32 v6, 0x34f2, v33
	v_fmac_f16_e32 v55, 0x34f2, v45
	v_fmac_f16_e32 v7, 0x38b4, v51
	v_fmac_f16_e32 v35, 0xb8b4, v61
	v_add_f16_e32 v52, v56, v58
	v_add_f16_e32 v32, v32, v65
	v_fmac_f16_e32 v15, 0x38b4, v49
	v_fmac_f16_e32 v1, 0xb8b4, v49
	;; [unrolled: 1-line block ×12, first 2 shown]
	v_add_f16_e32 v3, v5, v3
	v_add_f16_e32 v5, v34, v46
	v_pack_b32_f16 v2, v2, v4
	v_fmac_f16_e32 v7, 0x34f2, v48
	v_fmac_f16_e32 v35, 0x34f2, v54
	v_pack_b32_f16 v4, v6, v55
	v_fmac_f16_e32 v15, 0x34f2, v52
	v_fmac_f16_e32 v1, 0x34f2, v52
	v_fmac_f16_e32 v36, 0x34f2, v32
	v_fmac_f16_e32 v43, 0x34f2, v32
	v_fmac_f16_e32 v47, 0x34f2, v48
	v_fmac_f16_e32 v53, 0x34f2, v54
	v_pack_b32_f16 v6, v66, v67
	v_pack_b32_f16 v0, v0, v42
	;; [unrolled: 1-line block ×4, first 2 shown]
	ds_write2_b32 v39, v2, v4 offset1:33
	v_pack_b32_f16 v2, v7, v35
	v_pack_b32_f16 v4, v15, v36
	;; [unrolled: 1-line block ×4, first 2 shown]
	ds_write2_b32 v39, v6, v0 offset0:66 offset1:99
	ds_write_b32 v39, v16 offset:528
	ds_write2_b32 v29, v3, v2 offset1:33
	ds_write2_b32 v29, v4, v1 offset0:66 offset1:99
	ds_write_b32 v29, v5 offset:528
	s_and_saveexec_b32 s1, s0
	s_cbranch_execz .LBB0_21
; %bb.20:
	v_mul_u32_u24_sdwa v0, v18, v30 dst_sel:DWORD dst_unused:UNUSED_PAD src0_sel:WORD_0 src1_sel:DWORD
	v_lshrrev_b32_e32 v0, 21, v0
	v_mul_lo_u16 v0, v0, 33
	v_sub_nc_u16 v0, v18, v0
	v_and_b32_e32 v4, 0xffff, v0
	v_lshlrev_b32_e32 v0, 4, v4
	v_lshl_add_u32 v4, v4, 2, 0
	global_load_dwordx4 v[0:3], v0, s[12:13] offset:88
	v_add_nc_u32_e32 v5, 0x1800, v4
	s_waitcnt vmcnt(0)
	v_mul_f16_sdwa v6, v23, v1 dst_sel:DWORD dst_unused:UNUSED_PAD src0_sel:DWORD src1_sel:WORD_1
	v_mul_f16_sdwa v7, v20, v0 dst_sel:DWORD dst_unused:UNUSED_PAD src0_sel:DWORD src1_sel:WORD_1
	;; [unrolled: 1-line block ×8, first 2 shown]
	v_fmac_f16_e32 v6, v28, v1
	v_fmac_f16_e32 v7, v22, v0
	v_fmac_f16_e32 v15, v27, v2
	v_fmac_f16_e32 v16, v26, v3
	v_fma_f16 v0, v20, v0, -v18
	v_fma_f16 v3, v25, v3, -v29
	;; [unrolled: 1-line block ×4, first 2 shown]
	v_sub_f16_e32 v18, v6, v7
	v_sub_f16_e32 v20, v15, v16
	v_add_f16_e32 v23, v7, v16
	v_sub_f16_e32 v25, v7, v6
	v_sub_f16_e32 v26, v16, v15
	v_add_f16_e32 v27, v6, v15
	v_add_f16_e32 v31, v0, v3
	;; [unrolled: 1-line block ×4, first 2 shown]
	v_sub_f16_e32 v22, v0, v3
	v_sub_f16_e32 v29, v1, v0
	;; [unrolled: 1-line block ×5, first 2 shown]
	v_add_f16_e32 v0, v19, v0
	v_add_f16_e32 v18, v18, v20
	v_fma_f16 v20, -0.5, v23, v21
	v_add_f16_e32 v23, v25, v26
	v_fma_f16 v21, -0.5, v27, v21
	v_fma_f16 v26, -0.5, v31, v19
	;; [unrolled: 1-line block ×3, first 2 shown]
	v_sub_f16_e32 v24, v1, v2
	v_sub_f16_e32 v32, v6, v15
	v_add_f16_e32 v6, v28, v6
	v_sub_f16_e32 v34, v3, v2
	v_add_f16_e32 v25, v29, v30
	v_add_f16_e32 v0, v0, v1
	v_fmamk_f16 v28, v22, 0x3b9c, v21
	v_fmac_f16_e32 v21, 0xbb9c, v22
	v_fmamk_f16 v29, v7, 0xbb9c, v19
	v_fmac_f16_e32 v19, 0x3b9c, v7
	;; [unrolled: 2-line block ×3, first 2 shown]
	v_add_f16_e32 v6, v6, v15
	v_fmamk_f16 v15, v32, 0x3b9c, v26
	v_fmac_f16_e32 v26, 0xbb9c, v32
	v_add_f16_e32 v27, v33, v34
	v_add_f16_e32 v0, v0, v2
	v_fmac_f16_e32 v21, 0xb8b4, v24
	v_fmac_f16_e32 v19, 0x38b4, v32
	v_fmac_f16_e32 v1, 0x38b4, v22
	v_fmac_f16_e32 v20, 0xb8b4, v22
	v_fmac_f16_e32 v15, 0xb8b4, v7
	v_fmac_f16_e32 v26, 0x38b4, v7
	v_fmac_f16_e32 v28, 0x38b4, v24
	v_fmac_f16_e32 v29, 0xb8b4, v32
	v_add_f16_e32 v2, v6, v16
	v_add_f16_e32 v0, v0, v3
	v_fmac_f16_e32 v21, 0x34f2, v23
	v_fmac_f16_e32 v19, 0x34f2, v27
	;; [unrolled: 1-line block ×8, first 2 shown]
	v_pack_b32_f16 v0, v0, v2
	v_pack_b32_f16 v2, v19, v21
	;; [unrolled: 1-line block ×5, first 2 shown]
	ds_write2_b32 v5, v0, v2 offset0:114 offset1:147
	ds_write2_b32 v5, v3, v1 offset0:180 offset1:213
	ds_write_b32 v4, v6 offset:7128
.LBB0_21:
	s_or_b32 exec_lo, exec_lo, s1
	s_waitcnt lgkmcnt(0)
	s_barrier
	buffer_gl0_inv
	s_and_saveexec_b32 s0, vcc_lo
	s_cbranch_execz .LBB0_23
; %bb.22:
	v_mul_u32_u24_e32 v0, 10, v14
	v_mul_lo_u32 v20, s3, v12
	v_mul_lo_u32 v13, s2, v13
	v_mad_u64_u32 v[18:19], null, s2, v12, 0
	v_lshlrev_b32_e32 v4, 2, v0
	v_lshlrev_b64 v[8:9], 2, v[8:9]
	v_add_nc_u32_e32 v26, 0xf00, v17
	v_lshl_add_u32 v14, v14, 2, 0
	v_add_nc_u32_e32 v25, 0xa00, v17
	s_clause 0x2
	global_load_dwordx4 v[0:3], v4, s[12:13] offset:616
	global_load_dwordx2 v[15:16], v4, s[12:13] offset:648
	global_load_dwordx4 v[4:7], v4, s[12:13] offset:632
	v_add3_u32 v19, v19, v13, v20
	v_add_nc_u32_e32 v20, 0x1400, v17
	ds_read2_b32 v[12:13], v17 offset1:165
	v_lshlrev_b64 v[23:24], 2, v[10:11]
	v_lshlrev_b64 v[18:19], 2, v[18:19]
	ds_read2_b32 v[10:11], v20 offset0:40 offset1:205
	ds_read_b32 v22, v17 offset:6600
	ds_read_b32 v21, v17 offset:1320
	ds_read_b32 v14, v14 offset:1980
	v_add_co_u32 v18, vcc_lo, s10, v18
	v_add_co_ci_u32_e32 v19, vcc_lo, s11, v19, vcc_lo
	v_add_co_u32 v8, vcc_lo, v18, v8
	v_add_co_ci_u32_e32 v9, vcc_lo, v19, v9, vcc_lo
	ds_read2_b32 v[19:20], v26 offset0:30 offset1:195
	ds_read2_b32 v[17:18], v25 offset0:20 offset1:185
	v_add_co_u32 v8, vcc_lo, v8, v23
	v_add_co_ci_u32_e32 v9, vcc_lo, v9, v24, vcc_lo
	v_add_co_u32 v23, vcc_lo, 0x800, v8
	v_add_co_ci_u32_e32 v24, vcc_lo, 0, v9, vcc_lo
	;; [unrolled: 2-line block ×3, first 2 shown]
	s_waitcnt vmcnt(2)
	v_lshrrev_b32_e32 v27, 16, v0
	s_waitcnt vmcnt(1)
	v_lshrrev_b32_e32 v32, 16, v16
	v_lshrrev_b32_e32 v28, 16, v1
	;; [unrolled: 1-line block ×5, first 2 shown]
	s_waitcnt lgkmcnt(4)
	v_mul_f16_sdwa v33, v16, v22 dst_sel:DWORD dst_unused:UNUSED_PAD src0_sel:DWORD src1_sel:WORD_1
	v_mul_f16_sdwa v34, v0, v13 dst_sel:DWORD dst_unused:UNUSED_PAD src0_sel:DWORD src1_sel:WORD_1
	;; [unrolled: 1-line block ×3, first 2 shown]
	s_waitcnt lgkmcnt(3)
	v_mul_f16_sdwa v36, v1, v21 dst_sel:DWORD dst_unused:UNUSED_PAD src0_sel:DWORD src1_sel:WORD_1
	s_waitcnt vmcnt(0)
	v_lshrrev_b32_e32 v38, 16, v5
	v_lshrrev_b32_e32 v39, 16, v6
	;; [unrolled: 1-line block ×3, first 2 shown]
	v_mul_f16_sdwa v41, v7, v10 dst_sel:DWORD dst_unused:UNUSED_PAD src0_sel:DWORD src1_sel:WORD_1
	s_waitcnt lgkmcnt(2)
	v_mul_f16_sdwa v42, v2, v14 dst_sel:DWORD dst_unused:UNUSED_PAD src0_sel:DWORD src1_sel:WORD_1
	s_waitcnt lgkmcnt(1)
	v_mul_f16_sdwa v43, v6, v20 dst_sel:DWORD dst_unused:UNUSED_PAD src0_sel:DWORD src1_sel:WORD_1
	v_mul_f16_sdwa v47, v27, v13 dst_sel:DWORD dst_unused:UNUSED_PAD src0_sel:DWORD src1_sel:WORD_1
	;; [unrolled: 1-line block ×4, first 2 shown]
	v_fmac_f16_e32 v33, v22, v32
	v_fmac_f16_e32 v34, v27, v13
	v_mul_f16_sdwa v27, v28, v21 dst_sel:DWORD dst_unused:UNUSED_PAD src0_sel:DWORD src1_sel:WORD_1
	v_mul_f16_sdwa v32, v31, v11 dst_sel:DWORD dst_unused:UNUSED_PAD src0_sel:DWORD src1_sel:WORD_1
	v_fmac_f16_e32 v35, v11, v31
	v_fmac_f16_e32 v36, v28, v21
	v_mul_f16_sdwa v28, v29, v14 dst_sel:DWORD dst_unused:UNUSED_PAD src0_sel:DWORD src1_sel:WORD_1
	v_mul_f16_sdwa v31, v40, v10 dst_sel:DWORD dst_unused:UNUSED_PAD src0_sel:DWORD src1_sel:WORD_1
	v_fmac_f16_e32 v41, v10, v40
	v_fmac_f16_e32 v42, v29, v14
	s_waitcnt lgkmcnt(0)
	v_mul_f16_sdwa v29, v30, v17 dst_sel:DWORD dst_unused:UNUSED_PAD src0_sel:DWORD src1_sel:WORD_1
	v_mul_f16_sdwa v40, v39, v20 dst_sel:DWORD dst_unused:UNUSED_PAD src0_sel:DWORD src1_sel:WORD_1
	v_fmac_f16_e32 v43, v20, v39
	v_mul_f16_sdwa v39, v38, v19 dst_sel:DWORD dst_unused:UNUSED_PAD src0_sel:DWORD src1_sel:WORD_1
	v_fma_f16 v0, v0, v13, -v47
	v_fma_f16 v13, v16, v22, -v48
	v_lshrrev_b32_e32 v37, 16, v4
	v_mul_f16_sdwa v44, v3, v17 dst_sel:DWORD dst_unused:UNUSED_PAD src0_sel:DWORD src1_sel:WORD_1
	v_mul_f16_sdwa v46, v4, v18 dst_sel:DWORD dst_unused:UNUSED_PAD src0_sel:DWORD src1_sel:WORD_1
	v_fmac_f16_e32 v45, v19, v38
	v_fma_f16 v1, v1, v21, -v27
	v_fma_f16 v2, v2, v14, -v28
	;; [unrolled: 1-line block ×4, first 2 shown]
	v_add_f16_sdwa v19, v34, v12 dst_sel:DWORD dst_unused:UNUSED_PAD src0_sel:DWORD src1_sel:WORD_1
	v_sub_f16_e32 v28, v0, v13
	v_add_f16_e32 v29, v0, v13
	v_add_f16_e32 v0, v0, v12
	v_fmac_f16_e32 v44, v30, v17
	v_mul_f16_sdwa v30, v37, v18 dst_sel:DWORD dst_unused:UNUSED_PAD src0_sel:DWORD src1_sel:WORD_1
	v_fmac_f16_e32 v46, v37, v18
	v_fma_f16 v7, v7, v10, -v31
	v_sub_f16_e32 v10, v34, v33
	v_add_f16_e32 v19, v19, v36
	v_add_f16_e32 v0, v0, v1
	v_fma_f16 v11, v15, v11, -v32
	v_fma_f16 v6, v6, v20, -v40
	;; [unrolled: 1-line block ×3, first 2 shown]
	v_sub_f16_e32 v14, v36, v35
	v_sub_f16_e32 v15, v42, v41
	;; [unrolled: 1-line block ×4, first 2 shown]
	v_mul_f16_e32 v30, 0xb482, v10
	v_mul_f16_e32 v47, 0xba0c, v10
	;; [unrolled: 1-line block ×4, first 2 shown]
	v_add_f16_e32 v19, v19, v42
	v_add_f16_e32 v0, v0, v2
	;; [unrolled: 1-line block ×5, first 2 shown]
	v_mul_f16_e32 v32, 0x3853, v14
	v_add_f16_e32 v34, v2, v7
	v_mul_f16_e32 v37, 0xba0c, v15
	v_add_f16_e32 v38, v3, v6
	v_mul_f16_e32 v39, 0x3b47, v17
	v_mul_f16_e32 v40, 0xbbeb, v18
	;; [unrolled: 1-line block ×19, first 2 shown]
	v_add_f16_e32 v62, v4, v5
	v_sub_f16_e32 v63, v1, v11
	v_sub_f16_e32 v36, v2, v7
	;; [unrolled: 1-line block ×4, first 2 shown]
	v_mul_f16_e32 v66, 0xb482, v28
	v_fma_f16 v67, v29, 0xbbad, -v30
	v_mul_f16_e32 v71, 0xba0c, v28
	v_fma_f16 v72, v29, 0xb93d, -v47
	;; [unrolled: 2-line block ×4, first 2 shown]
	v_mul_f16_e32 v28, 0xb853, v28
	v_fmac_f16_e32 v30, 0xbbad, v29
	v_add_f16_e32 v19, v19, v44
	v_add_f16_e32 v0, v0, v3
	;; [unrolled: 1-line block ×5, first 2 shown]
	v_fma_f16 v68, v31, 0x3abb, -v32
	v_fma_f16 v69, v34, 0xb93d, -v37
	;; [unrolled: 1-line block ×11, first 2 shown]
	v_fmac_f16_e32 v47, 0xb93d, v29
	v_fmac_f16_e32 v52, 0xb08e, v29
	;; [unrolled: 1-line block ×4, first 2 shown]
	v_fma_f16 v29, v34, 0xbbad, -v58
	v_fma_f16 v85, v38, 0xb08e, -v59
	;; [unrolled: 1-line block ×3, first 2 shown]
	v_fmac_f16_e32 v32, 0x3abb, v31
	v_fmac_f16_e32 v48, 0xb08e, v31
	v_fmac_f16_e32 v53, 0xbbad, v31
	v_fmac_f16_e32 v57, 0xb93d, v31
	v_fmac_f16_e32 v14, 0x36a6, v31
	v_fma_f16 v31, v34, 0xb08e, -v15
	v_fmac_f16_e32 v37, 0xb93d, v34
	v_fmac_f16_e32 v49, 0x3abb, v34
	v_fmac_f16_e32 v54, 0x36a6, v34
	v_fmac_f16_e32 v58, 0xbbad, v34
	v_fmac_f16_e32 v15, 0xb08e, v34
	v_fma_f16 v34, v38, 0xb93d, -v17
	;; [unrolled: 6-line block ×3, first 2 shown]
	v_fmac_f16_e32 v40, 0xb08e, v62
	v_fma_f16 v87, v62, 0x36a6, -v51
	v_fmac_f16_e32 v51, 0x36a6, v62
	v_fma_f16 v88, v62, 0xb93d, -v60
	;; [unrolled: 2-line block ×4, first 2 shown]
	v_fmac_f16_e32 v18, 0xbbad, v62
	v_mul_f16_e32 v1, 0x3853, v63
	v_mul_f16_e32 v62, 0x3beb, v63
	v_mul_f16_e32 v91, 0x3482, v63
	v_mul_f16_e32 v92, 0xba0c, v63
	v_mul_f16_e32 v63, 0xbb47, v63
	v_mul_f16_e32 v42, 0xba0c, v36
	v_mul_f16_e32 v93, 0xb853, v36
	v_mul_f16_e32 v94, 0x3b47, v36
	v_mul_f16_e32 v95, 0x3482, v36
	v_mul_f16_e32 v36, 0xbbeb, v36
	v_mul_f16_e32 v96, 0x3b47, v64
	v_mul_f16_e32 v97, 0xb482, v64
	v_mul_f16_e32 v98, 0xb853, v64
	v_mul_f16_e32 v99, 0x3beb, v64
	v_mul_f16_e32 v64, 0xba0c, v64
	v_mul_f16_e32 v100, 0xbbeb, v65
	v_mul_f16_e32 v101, 0x3b47, v65
	v_mul_f16_e32 v102, 0xba0c, v65
	v_mul_f16_e32 v103, 0x3853, v65
	v_mul_f16_e32 v65, 0xb482, v65
	v_fmamk_f16 v104, v16, 0xbbad, v66
	v_fmamk_f16 v105, v16, 0xb93d, v71
	v_fmamk_f16 v106, v16, 0xb08e, v76
	v_fmamk_f16 v107, v16, 0x36a6, v81
	v_fmamk_f16 v108, v16, 0x3abb, v28
	v_fma_f16 v66, v16, 0xbbad, -v66
	v_fma_f16 v71, v16, 0xb93d, -v71
	;; [unrolled: 1-line block ×5, first 2 shown]
	v_add_f16_e32 v28, v67, v12
	v_add_f16_e32 v67, v72, v12
	;; [unrolled: 1-line block ×12, first 2 shown]
	v_fmamk_f16 v84, v20, 0x3abb, v1
	v_fma_f16 v1, v20, 0x3abb, -v1
	v_fmamk_f16 v109, v20, 0xb08e, v62
	v_fma_f16 v62, v20, 0xb08e, -v62
	;; [unrolled: 2-line block ×20, first 2 shown]
	v_add_f16_sdwa v65, v104, v12 dst_sel:DWORD dst_unused:UNUSED_PAD src0_sel:DWORD src1_sel:WORD_1
	v_add_f16_sdwa v104, v105, v12 dst_sel:DWORD dst_unused:UNUSED_PAD src0_sel:DWORD src1_sel:WORD_1
	;; [unrolled: 1-line block ×10, first 2 shown]
	v_add_f16_e32 v16, v28, v68
	v_add_f16_e32 v28, v67, v73
	;; [unrolled: 1-line block ×87, first 2 shown]
	v_pack_b32_f16 v11, v31, v21
	v_pack_b32_f16 v18, v28, v18
	v_add_f16_e32 v34, v37, v61
	v_add_f16_e32 v19, v32, v103
	v_pack_b32_f16 v17, v20, v17
	v_add_f16_e32 v12, v12, v27
	v_pack_b32_f16 v15, v16, v15
	v_pack_b32_f16 v2, v14, v2
	;; [unrolled: 1-line block ×6, first 2 shown]
	global_store_dword v[8:9], v11, off offset:660
	global_store_dword v[8:9], v18, off offset:1320
	;; [unrolled: 1-line block ×5, first 2 shown]
	global_store_dword v[8:9], v0, off
	v_add_co_u32 v0, vcc_lo, 0x1800, v8
	v_pack_b32_f16 v7, v34, v19
	v_pack_b32_f16 v10, v10, v12
	v_add_co_ci_u32_e32 v1, vcc_lo, 0, v9, vcc_lo
	global_store_dword v[23:24], v4, off offset:1912
	global_store_dword v[25:26], v5, off offset:524
	;; [unrolled: 1-line block ×5, first 2 shown]
.LBB0_23:
	s_endpgm
	.section	.rodata,"a",@progbits
	.p2align	6, 0x0
	.amdhsa_kernel fft_rtc_fwd_len1815_factors_11_3_5_11_wgs_165_tpt_165_half_op_CI_CI_unitstride_sbrr_dirReg
		.amdhsa_group_segment_fixed_size 0
		.amdhsa_private_segment_fixed_size 0
		.amdhsa_kernarg_size 104
		.amdhsa_user_sgpr_count 6
		.amdhsa_user_sgpr_private_segment_buffer 1
		.amdhsa_user_sgpr_dispatch_ptr 0
		.amdhsa_user_sgpr_queue_ptr 0
		.amdhsa_user_sgpr_kernarg_segment_ptr 1
		.amdhsa_user_sgpr_dispatch_id 0
		.amdhsa_user_sgpr_flat_scratch_init 0
		.amdhsa_user_sgpr_private_segment_size 0
		.amdhsa_wavefront_size32 1
		.amdhsa_uses_dynamic_stack 0
		.amdhsa_system_sgpr_private_segment_wavefront_offset 0
		.amdhsa_system_sgpr_workgroup_id_x 1
		.amdhsa_system_sgpr_workgroup_id_y 0
		.amdhsa_system_sgpr_workgroup_id_z 0
		.amdhsa_system_sgpr_workgroup_info 0
		.amdhsa_system_vgpr_workitem_id 0
		.amdhsa_next_free_vgpr 123
		.amdhsa_next_free_sgpr 27
		.amdhsa_reserve_vcc 1
		.amdhsa_reserve_flat_scratch 0
		.amdhsa_float_round_mode_32 0
		.amdhsa_float_round_mode_16_64 0
		.amdhsa_float_denorm_mode_32 3
		.amdhsa_float_denorm_mode_16_64 3
		.amdhsa_dx10_clamp 1
		.amdhsa_ieee_mode 1
		.amdhsa_fp16_overflow 0
		.amdhsa_workgroup_processor_mode 1
		.amdhsa_memory_ordered 1
		.amdhsa_forward_progress 0
		.amdhsa_shared_vgpr_count 0
		.amdhsa_exception_fp_ieee_invalid_op 0
		.amdhsa_exception_fp_denorm_src 0
		.amdhsa_exception_fp_ieee_div_zero 0
		.amdhsa_exception_fp_ieee_overflow 0
		.amdhsa_exception_fp_ieee_underflow 0
		.amdhsa_exception_fp_ieee_inexact 0
		.amdhsa_exception_int_div_zero 0
	.end_amdhsa_kernel
	.text
.Lfunc_end0:
	.size	fft_rtc_fwd_len1815_factors_11_3_5_11_wgs_165_tpt_165_half_op_CI_CI_unitstride_sbrr_dirReg, .Lfunc_end0-fft_rtc_fwd_len1815_factors_11_3_5_11_wgs_165_tpt_165_half_op_CI_CI_unitstride_sbrr_dirReg
                                        ; -- End function
	.section	.AMDGPU.csdata,"",@progbits
; Kernel info:
; codeLenInByte = 9852
; NumSgprs: 29
; NumVgprs: 123
; ScratchSize: 0
; MemoryBound: 0
; FloatMode: 240
; IeeeMode: 1
; LDSByteSize: 0 bytes/workgroup (compile time only)
; SGPRBlocks: 3
; VGPRBlocks: 15
; NumSGPRsForWavesPerEU: 29
; NumVGPRsForWavesPerEU: 123
; Occupancy: 8
; WaveLimiterHint : 1
; COMPUTE_PGM_RSRC2:SCRATCH_EN: 0
; COMPUTE_PGM_RSRC2:USER_SGPR: 6
; COMPUTE_PGM_RSRC2:TRAP_HANDLER: 0
; COMPUTE_PGM_RSRC2:TGID_X_EN: 1
; COMPUTE_PGM_RSRC2:TGID_Y_EN: 0
; COMPUTE_PGM_RSRC2:TGID_Z_EN: 0
; COMPUTE_PGM_RSRC2:TIDIG_COMP_CNT: 0
	.text
	.p2alignl 6, 3214868480
	.fill 48, 4, 3214868480
	.type	__hip_cuid_ad5be774ccaa62cc,@object ; @__hip_cuid_ad5be774ccaa62cc
	.section	.bss,"aw",@nobits
	.globl	__hip_cuid_ad5be774ccaa62cc
__hip_cuid_ad5be774ccaa62cc:
	.byte	0                               ; 0x0
	.size	__hip_cuid_ad5be774ccaa62cc, 1

	.ident	"AMD clang version 19.0.0git (https://github.com/RadeonOpenCompute/llvm-project roc-6.4.0 25133 c7fe45cf4b819c5991fe208aaa96edf142730f1d)"
	.section	".note.GNU-stack","",@progbits
	.addrsig
	.addrsig_sym __hip_cuid_ad5be774ccaa62cc
	.amdgpu_metadata
---
amdhsa.kernels:
  - .args:
      - .actual_access:  read_only
        .address_space:  global
        .offset:         0
        .size:           8
        .value_kind:     global_buffer
      - .offset:         8
        .size:           8
        .value_kind:     by_value
      - .actual_access:  read_only
        .address_space:  global
        .offset:         16
        .size:           8
        .value_kind:     global_buffer
      - .actual_access:  read_only
        .address_space:  global
        .offset:         24
        .size:           8
        .value_kind:     global_buffer
      - .actual_access:  read_only
        .address_space:  global
        .offset:         32
        .size:           8
        .value_kind:     global_buffer
      - .offset:         40
        .size:           8
        .value_kind:     by_value
      - .actual_access:  read_only
        .address_space:  global
        .offset:         48
        .size:           8
        .value_kind:     global_buffer
      - .actual_access:  read_only
        .address_space:  global
        .offset:         56
        .size:           8
        .value_kind:     global_buffer
      - .offset:         64
        .size:           4
        .value_kind:     by_value
      - .actual_access:  read_only
        .address_space:  global
        .offset:         72
        .size:           8
        .value_kind:     global_buffer
      - .actual_access:  read_only
        .address_space:  global
        .offset:         80
        .size:           8
        .value_kind:     global_buffer
      - .actual_access:  read_only
        .address_space:  global
        .offset:         88
        .size:           8
        .value_kind:     global_buffer
      - .actual_access:  write_only
        .address_space:  global
        .offset:         96
        .size:           8
        .value_kind:     global_buffer
    .group_segment_fixed_size: 0
    .kernarg_segment_align: 8
    .kernarg_segment_size: 104
    .language:       OpenCL C
    .language_version:
      - 2
      - 0
    .max_flat_workgroup_size: 165
    .name:           fft_rtc_fwd_len1815_factors_11_3_5_11_wgs_165_tpt_165_half_op_CI_CI_unitstride_sbrr_dirReg
    .private_segment_fixed_size: 0
    .sgpr_count:     29
    .sgpr_spill_count: 0
    .symbol:         fft_rtc_fwd_len1815_factors_11_3_5_11_wgs_165_tpt_165_half_op_CI_CI_unitstride_sbrr_dirReg.kd
    .uniform_work_group_size: 1
    .uses_dynamic_stack: false
    .vgpr_count:     123
    .vgpr_spill_count: 0
    .wavefront_size: 32
    .workgroup_processor_mode: 1
amdhsa.target:   amdgcn-amd-amdhsa--gfx1030
amdhsa.version:
  - 1
  - 2
...

	.end_amdgpu_metadata
